;; amdgpu-corpus repo=ROCm/rocFFT kind=compiled arch=gfx1030 opt=O3
	.text
	.amdgcn_target "amdgcn-amd-amdhsa--gfx1030"
	.amdhsa_code_object_version 6
	.protected	fft_rtc_back_len660_factors_11_6_10_wgs_110_tpt_110_halfLds_dp_ip_CI_unitstride_sbrr_dirReg ; -- Begin function fft_rtc_back_len660_factors_11_6_10_wgs_110_tpt_110_halfLds_dp_ip_CI_unitstride_sbrr_dirReg
	.globl	fft_rtc_back_len660_factors_11_6_10_wgs_110_tpt_110_halfLds_dp_ip_CI_unitstride_sbrr_dirReg
	.p2align	8
	.type	fft_rtc_back_len660_factors_11_6_10_wgs_110_tpt_110_halfLds_dp_ip_CI_unitstride_sbrr_dirReg,@function
fft_rtc_back_len660_factors_11_6_10_wgs_110_tpt_110_halfLds_dp_ip_CI_unitstride_sbrr_dirReg: ; @fft_rtc_back_len660_factors_11_6_10_wgs_110_tpt_110_halfLds_dp_ip_CI_unitstride_sbrr_dirReg
; %bb.0:
	s_clause 0x2
	s_load_dwordx4 s[8:11], s[4:5], 0x0
	s_load_dwordx2 s[2:3], s[4:5], 0x50
	s_load_dwordx2 s[12:13], s[4:5], 0x18
	v_mul_u32_u24_e32 v1, 0x254, v0
	v_mov_b32_e32 v3, 0
	v_add_nc_u32_sdwa v5, s6, v1 dst_sel:DWORD dst_unused:UNUSED_PAD src0_sel:DWORD src1_sel:WORD_1
	v_mov_b32_e32 v1, 0
	v_mov_b32_e32 v6, v3
	v_mov_b32_e32 v2, 0
	s_waitcnt lgkmcnt(0)
	v_cmp_lt_u64_e64 s0, s[10:11], 2
	s_and_b32 vcc_lo, exec_lo, s0
	s_cbranch_vccnz .LBB0_8
; %bb.1:
	s_load_dwordx2 s[0:1], s[4:5], 0x10
	v_mov_b32_e32 v1, 0
	s_add_u32 s6, s12, 8
	v_mov_b32_e32 v2, 0
	s_addc_u32 s7, s13, 0
	s_mov_b64 s[16:17], 1
	s_waitcnt lgkmcnt(0)
	s_add_u32 s14, s0, 8
	s_addc_u32 s15, s1, 0
.LBB0_2:                                ; =>This Inner Loop Header: Depth=1
	s_load_dwordx2 s[18:19], s[14:15], 0x0
                                        ; implicit-def: $vgpr7_vgpr8
	s_mov_b32 s0, exec_lo
	s_waitcnt lgkmcnt(0)
	v_or_b32_e32 v4, s19, v6
	v_cmpx_ne_u64_e32 0, v[3:4]
	s_xor_b32 s1, exec_lo, s0
	s_cbranch_execz .LBB0_4
; %bb.3:                                ;   in Loop: Header=BB0_2 Depth=1
	v_cvt_f32_u32_e32 v4, s18
	v_cvt_f32_u32_e32 v7, s19
	s_sub_u32 s0, 0, s18
	s_subb_u32 s20, 0, s19
	v_fmac_f32_e32 v4, 0x4f800000, v7
	v_rcp_f32_e32 v4, v4
	v_mul_f32_e32 v4, 0x5f7ffffc, v4
	v_mul_f32_e32 v7, 0x2f800000, v4
	v_trunc_f32_e32 v7, v7
	v_fmac_f32_e32 v4, 0xcf800000, v7
	v_cvt_u32_f32_e32 v7, v7
	v_cvt_u32_f32_e32 v4, v4
	v_mul_lo_u32 v8, s0, v7
	v_mul_hi_u32 v9, s0, v4
	v_mul_lo_u32 v10, s20, v4
	v_add_nc_u32_e32 v8, v9, v8
	v_mul_lo_u32 v9, s0, v4
	v_add_nc_u32_e32 v8, v8, v10
	v_mul_hi_u32 v10, v4, v9
	v_mul_lo_u32 v11, v4, v8
	v_mul_hi_u32 v12, v4, v8
	v_mul_hi_u32 v13, v7, v9
	v_mul_lo_u32 v9, v7, v9
	v_mul_hi_u32 v14, v7, v8
	v_mul_lo_u32 v8, v7, v8
	v_add_co_u32 v10, vcc_lo, v10, v11
	v_add_co_ci_u32_e32 v11, vcc_lo, 0, v12, vcc_lo
	v_add_co_u32 v9, vcc_lo, v10, v9
	v_add_co_ci_u32_e32 v9, vcc_lo, v11, v13, vcc_lo
	v_add_co_ci_u32_e32 v10, vcc_lo, 0, v14, vcc_lo
	v_add_co_u32 v8, vcc_lo, v9, v8
	v_add_co_ci_u32_e32 v9, vcc_lo, 0, v10, vcc_lo
	v_add_co_u32 v4, vcc_lo, v4, v8
	v_add_co_ci_u32_e32 v7, vcc_lo, v7, v9, vcc_lo
	v_mul_hi_u32 v8, s0, v4
	v_mul_lo_u32 v10, s20, v4
	v_mul_lo_u32 v9, s0, v7
	v_add_nc_u32_e32 v8, v8, v9
	v_mul_lo_u32 v9, s0, v4
	v_add_nc_u32_e32 v8, v8, v10
	v_mul_hi_u32 v10, v4, v9
	v_mul_lo_u32 v11, v4, v8
	v_mul_hi_u32 v12, v4, v8
	v_mul_hi_u32 v13, v7, v9
	v_mul_lo_u32 v9, v7, v9
	v_mul_hi_u32 v14, v7, v8
	v_mul_lo_u32 v8, v7, v8
	v_add_co_u32 v10, vcc_lo, v10, v11
	v_add_co_ci_u32_e32 v11, vcc_lo, 0, v12, vcc_lo
	v_add_co_u32 v9, vcc_lo, v10, v9
	v_add_co_ci_u32_e32 v9, vcc_lo, v11, v13, vcc_lo
	v_add_co_ci_u32_e32 v10, vcc_lo, 0, v14, vcc_lo
	v_add_co_u32 v8, vcc_lo, v9, v8
	v_add_co_ci_u32_e32 v9, vcc_lo, 0, v10, vcc_lo
	v_add_co_u32 v4, vcc_lo, v4, v8
	v_add_co_ci_u32_e32 v11, vcc_lo, v7, v9, vcc_lo
	v_mul_hi_u32 v13, v5, v4
	v_mad_u64_u32 v[9:10], null, v6, v4, 0
	v_mad_u64_u32 v[7:8], null, v5, v11, 0
	;; [unrolled: 1-line block ×3, first 2 shown]
	v_add_co_u32 v4, vcc_lo, v13, v7
	v_add_co_ci_u32_e32 v7, vcc_lo, 0, v8, vcc_lo
	v_add_co_u32 v4, vcc_lo, v4, v9
	v_add_co_ci_u32_e32 v4, vcc_lo, v7, v10, vcc_lo
	v_add_co_ci_u32_e32 v7, vcc_lo, 0, v12, vcc_lo
	v_add_co_u32 v4, vcc_lo, v4, v11
	v_add_co_ci_u32_e32 v9, vcc_lo, 0, v7, vcc_lo
	v_mul_lo_u32 v10, s19, v4
	v_mad_u64_u32 v[7:8], null, s18, v4, 0
	v_mul_lo_u32 v11, s18, v9
	v_sub_co_u32 v7, vcc_lo, v5, v7
	v_add3_u32 v8, v8, v11, v10
	v_sub_nc_u32_e32 v10, v6, v8
	v_subrev_co_ci_u32_e64 v10, s0, s19, v10, vcc_lo
	v_add_co_u32 v11, s0, v4, 2
	v_add_co_ci_u32_e64 v12, s0, 0, v9, s0
	v_sub_co_u32 v13, s0, v7, s18
	v_sub_co_ci_u32_e32 v8, vcc_lo, v6, v8, vcc_lo
	v_subrev_co_ci_u32_e64 v10, s0, 0, v10, s0
	v_cmp_le_u32_e32 vcc_lo, s18, v13
	v_cmp_eq_u32_e64 s0, s19, v8
	v_cndmask_b32_e64 v13, 0, -1, vcc_lo
	v_cmp_le_u32_e32 vcc_lo, s19, v10
	v_cndmask_b32_e64 v14, 0, -1, vcc_lo
	v_cmp_le_u32_e32 vcc_lo, s18, v7
	;; [unrolled: 2-line block ×3, first 2 shown]
	v_cndmask_b32_e64 v15, 0, -1, vcc_lo
	v_cmp_eq_u32_e32 vcc_lo, s19, v10
	v_cndmask_b32_e64 v7, v15, v7, s0
	v_cndmask_b32_e32 v10, v14, v13, vcc_lo
	v_add_co_u32 v13, vcc_lo, v4, 1
	v_add_co_ci_u32_e32 v14, vcc_lo, 0, v9, vcc_lo
	v_cmp_ne_u32_e32 vcc_lo, 0, v10
	v_cndmask_b32_e32 v8, v14, v12, vcc_lo
	v_cndmask_b32_e32 v10, v13, v11, vcc_lo
	v_cmp_ne_u32_e32 vcc_lo, 0, v7
	v_cndmask_b32_e32 v8, v9, v8, vcc_lo
	v_cndmask_b32_e32 v7, v4, v10, vcc_lo
.LBB0_4:                                ;   in Loop: Header=BB0_2 Depth=1
	s_andn2_saveexec_b32 s0, s1
	s_cbranch_execz .LBB0_6
; %bb.5:                                ;   in Loop: Header=BB0_2 Depth=1
	v_cvt_f32_u32_e32 v4, s18
	s_sub_i32 s1, 0, s18
	v_rcp_iflag_f32_e32 v4, v4
	v_mul_f32_e32 v4, 0x4f7ffffe, v4
	v_cvt_u32_f32_e32 v4, v4
	v_mul_lo_u32 v7, s1, v4
	v_mul_hi_u32 v7, v4, v7
	v_add_nc_u32_e32 v4, v4, v7
	v_mul_hi_u32 v4, v5, v4
	v_mul_lo_u32 v7, v4, s18
	v_add_nc_u32_e32 v8, 1, v4
	v_sub_nc_u32_e32 v7, v5, v7
	v_subrev_nc_u32_e32 v9, s18, v7
	v_cmp_le_u32_e32 vcc_lo, s18, v7
	v_cndmask_b32_e32 v7, v7, v9, vcc_lo
	v_cndmask_b32_e32 v4, v4, v8, vcc_lo
	v_cmp_le_u32_e32 vcc_lo, s18, v7
	v_add_nc_u32_e32 v8, 1, v4
	v_cndmask_b32_e32 v7, v4, v8, vcc_lo
	v_mov_b32_e32 v8, v3
.LBB0_6:                                ;   in Loop: Header=BB0_2 Depth=1
	s_or_b32 exec_lo, exec_lo, s0
	s_load_dwordx2 s[0:1], s[6:7], 0x0
	v_mul_lo_u32 v4, v8, s18
	v_mul_lo_u32 v11, v7, s19
	v_mad_u64_u32 v[9:10], null, v7, s18, 0
	s_add_u32 s16, s16, 1
	s_addc_u32 s17, s17, 0
	s_add_u32 s6, s6, 8
	s_addc_u32 s7, s7, 0
	;; [unrolled: 2-line block ×3, first 2 shown]
	v_add3_u32 v4, v10, v11, v4
	v_sub_co_u32 v5, vcc_lo, v5, v9
	v_sub_co_ci_u32_e32 v4, vcc_lo, v6, v4, vcc_lo
	s_waitcnt lgkmcnt(0)
	v_mul_lo_u32 v6, s1, v5
	v_mul_lo_u32 v4, s0, v4
	v_mad_u64_u32 v[1:2], null, s0, v5, v[1:2]
	v_cmp_ge_u64_e64 s0, s[16:17], s[10:11]
	s_and_b32 vcc_lo, exec_lo, s0
	v_add3_u32 v2, v6, v2, v4
	s_cbranch_vccnz .LBB0_9
; %bb.7:                                ;   in Loop: Header=BB0_2 Depth=1
	v_mov_b32_e32 v5, v7
	v_mov_b32_e32 v6, v8
	s_branch .LBB0_2
.LBB0_8:
	v_mov_b32_e32 v8, v6
	v_mov_b32_e32 v7, v5
.LBB0_9:
	s_lshl_b64 s[0:1], s[10:11], 3
	v_mul_hi_u32 v3, 0x253c826, v0
	s_add_u32 s0, s12, s0
	s_addc_u32 s1, s13, s1
                                        ; implicit-def: $vgpr14_vgpr15
                                        ; implicit-def: $vgpr10_vgpr11
                                        ; implicit-def: $vgpr22_vgpr23
                                        ; implicit-def: $vgpr26_vgpr27
                                        ; implicit-def: $vgpr30_vgpr31
                                        ; implicit-def: $vgpr38_vgpr39
                                        ; implicit-def: $vgpr50_vgpr51
                                        ; implicit-def: $vgpr42_vgpr43
                                        ; implicit-def: $vgpr46_vgpr47
                                        ; implicit-def: $vgpr34_vgpr35
                                        ; implicit-def: $vgpr18_vgpr19
	s_load_dwordx2 s[0:1], s[0:1], 0x0
	s_load_dwordx2 s[4:5], s[4:5], 0x20
	v_mul_u32_u24_e32 v3, 0x6e, v3
	v_sub_nc_u32_e32 v72, v0, v3
	s_waitcnt lgkmcnt(0)
	v_mul_lo_u32 v4, s0, v8
	v_mul_lo_u32 v5, s1, v7
	v_mad_u64_u32 v[1:2], null, s0, v7, v[1:2]
	v_cmp_gt_u64_e32 vcc_lo, s[4:5], v[7:8]
	v_cmp_gt_u32_e64 s0, 60, v72
	s_and_b32 s1, vcc_lo, s0
	v_add3_u32 v2, v5, v2, v4
	v_lshlrev_b64 v[74:75], 4, v[1:2]
	s_and_saveexec_b32 s4, s1
	s_cbranch_execz .LBB0_11
; %bb.10:
	v_mov_b32_e32 v73, 0
	v_add_co_u32 v2, s1, s2, v74
	v_add_co_ci_u32_e64 v3, s1, s3, v75, s1
	v_lshlrev_b64 v[0:1], 4, v[72:73]
	v_add_co_u32 v0, s1, v2, v0
	v_add_co_ci_u32_e64 v1, s1, v3, v1, s1
	s_clause 0x1
	global_load_dwordx4 v[16:19], v[0:1], off
	global_load_dwordx4 v[32:35], v[0:1], off offset:960
	v_add_co_u32 v2, s1, 0x800, v0
	v_add_co_ci_u32_e64 v3, s1, 0, v1, s1
	v_add_co_u32 v4, s1, 0x1000, v0
	v_add_co_ci_u32_e64 v5, s1, 0, v1, s1
	;; [unrolled: 2-line block ×3, first 2 shown]
	s_clause 0x1
	global_load_dwordx4 v[44:47], v[0:1], off offset:1920
	global_load_dwordx4 v[40:43], v[2:3], off offset:832
	v_add_co_u32 v0, s1, 0x2000, v0
	v_add_co_ci_u32_e64 v1, s1, 0, v1, s1
	s_clause 0x6
	global_load_dwordx4 v[48:51], v[2:3], off offset:1792
	global_load_dwordx4 v[36:39], v[4:5], off offset:704
	global_load_dwordx4 v[28:31], v[4:5], off offset:1664
	global_load_dwordx4 v[24:27], v[6:7], off offset:576
	global_load_dwordx4 v[20:23], v[6:7], off offset:1536
	global_load_dwordx4 v[8:11], v[0:1], off offset:448
	global_load_dwordx4 v[12:15], v[0:1], off offset:1408
.LBB0_11:
	s_or_b32 exec_lo, exec_lo, s4
	s_waitcnt vmcnt(0)
	v_add_f64 v[52:53], v[34:35], -v[14:15]
	s_mov_b32 s22, 0x8eee2c13
	s_mov_b32 s16, 0x43842ef
	;; [unrolled: 1-line block ×8, first 2 shown]
	v_add_f64 v[54:55], v[12:13], v[32:33]
	v_add_f64 v[56:57], v[46:47], -v[10:11]
	s_mov_b32 s4, 0xd9c712b6
	s_mov_b32 s6, 0x640f44db
	;; [unrolled: 1-line block ×11, first 2 shown]
	v_mul_f64 v[58:59], v[52:53], s[22:23]
	v_mul_f64 v[60:61], v[52:53], s[16:17]
	;; [unrolled: 1-line block ×4, first 2 shown]
	s_mov_b32 s25, 0x3fe14ced
	s_mov_b32 s34, s20
	;; [unrolled: 1-line block ×3, first 2 shown]
	v_add_f64 v[106:107], v[8:9], v[44:45]
	v_add_f64 v[62:63], v[42:43], -v[22:23]
	s_mov_b32 s12, 0x8764f0ba
	v_mul_f64 v[80:81], v[56:57], s[18:19]
	v_mul_f64 v[86:87], v[56:57], s[34:35]
	;; [unrolled: 1-line block ×4, first 2 shown]
	s_mov_b32 s27, 0x3fed1bb4
	s_mov_b32 s31, 0xbfe14ced
	;; [unrolled: 1-line block ×5, first 2 shown]
	v_add_f64 v[110:111], v[20:21], v[40:41]
	v_add_f64 v[64:65], v[50:51], -v[26:27]
	v_add_f64 v[112:113], v[24:25], v[48:49]
	v_fma_f64 v[0:1], v[54:55], s[4:5], -v[58:59]
	v_fma_f64 v[2:3], v[54:55], s[6:7], -v[60:61]
	;; [unrolled: 1-line block ×4, first 2 shown]
	v_add_f64 v[66:67], v[38:39], -v[30:31]
	v_add_f64 v[114:115], v[28:29], v[36:37]
	v_mul_f64 v[76:77], v[62:63], s[34:35]
	v_mul_f64 v[82:83], v[62:63], s[26:27]
	;; [unrolled: 1-line block ×4, first 2 shown]
	v_fma_f64 v[84:85], v[106:107], s[10:11], -v[80:81]
	v_fma_f64 v[90:91], v[106:107], s[14:15], -v[86:87]
	;; [unrolled: 1-line block ×4, first 2 shown]
	v_mul_f64 v[68:69], v[64:65], s[28:29]
	v_mul_f64 v[78:79], v[64:65], s[30:31]
	v_add_f64 v[0:1], v[16:17], v[0:1]
	v_add_f64 v[2:3], v[16:17], v[2:3]
	;; [unrolled: 1-line block ×4, first 2 shown]
	v_mul_f64 v[88:89], v[64:65], s[20:21]
	v_mul_f64 v[96:97], v[64:65], s[26:27]
	v_fma_f64 v[116:117], v[110:111], s[14:15], -v[76:77]
	v_fma_f64 v[118:119], v[110:111], s[4:5], -v[82:83]
	;; [unrolled: 1-line block ×6, first 2 shown]
	v_add_f64 v[0:1], v[84:85], v[0:1]
	v_add_f64 v[2:3], v[90:91], v[2:3]
	;; [unrolled: 1-line block ×4, first 2 shown]
	v_mul_f64 v[84:85], v[66:67], s[24:25]
	v_mul_f64 v[90:91], v[66:67], s[18:19]
	;; [unrolled: 1-line block ×4, first 2 shown]
	v_add_f64 v[0:1], v[116:117], v[0:1]
	v_fma_f64 v[116:117], v[112:113], s[14:15], -v[88:89]
	v_add_f64 v[2:3], v[118:119], v[2:3]
	v_fma_f64 v[118:119], v[112:113], s[4:5], -v[96:97]
	v_add_f64 v[4:5], v[120:121], v[4:5]
	v_add_f64 v[6:7], v[122:123], v[6:7]
	v_fma_f64 v[120:121], v[114:115], s[12:13], -v[84:85]
	v_fma_f64 v[122:123], v[114:115], s[10:11], -v[90:91]
	;; [unrolled: 1-line block ×3, first 2 shown]
	v_add_f64 v[0:1], v[124:125], v[0:1]
	v_fma_f64 v[124:125], v[114:115], s[4:5], -v[98:99]
	v_add_f64 v[126:127], v[126:127], v[2:3]
	v_add_f64 v[4:5], v[116:117], v[4:5]
	v_add_f64 v[116:117], v[118:119], v[6:7]
	v_add_f64 v[2:3], v[120:121], v[0:1]
	v_add_f64 v[0:1], v[122:123], v[126:127]
	v_add_f64 v[6:7], v[124:125], v[4:5]
	v_add_f64 v[4:5], v[128:129], v[116:117]
	s_and_saveexec_b32 s1, s0
	s_cbranch_execz .LBB0_13
; %bb.12:
	v_add_f64 v[116:117], v[32:33], v[16:17]
	v_mul_f64 v[122:123], v[54:55], s[6:7]
	v_mul_f64 v[124:125], v[54:55], s[4:5]
	;; [unrolled: 1-line block ×10, first 2 shown]
	s_mov_b32 s37, 0x3fe82f19
	s_mov_b32 s36, s18
	v_add_f64 v[116:117], v[44:45], v[116:117]
	v_add_f64 v[60:61], v[60:61], v[122:123]
	v_add_f64 v[58:59], v[58:59], v[124:125]
	v_add_f64 v[102:103], v[102:103], v[118:119]
	v_add_f64 v[70:71], v[70:71], v[120:121]
	v_fma_f64 v[118:119], v[52:53], s[30:31], v[54:55]
	v_fma_f64 v[52:53], v[52:53], s[24:25], v[54:55]
	v_mul_f64 v[54:55], v[110:111], s[4:5]
	v_mul_f64 v[124:125], v[110:111], s[14:15]
	v_add_f64 v[86:87], v[86:87], v[130:131]
	v_add_f64 v[80:81], v[80:81], v[132:133]
	v_mul_f64 v[120:121], v[110:111], s[10:11]
	v_mul_f64 v[122:123], v[110:111], s[12:13]
	v_add_f64 v[108:109], v[108:109], v[126:127]
	v_add_f64 v[92:93], v[92:93], v[128:129]
	v_mul_f64 v[110:111], v[110:111], s[6:7]
	v_fma_f64 v[126:127], v[56:57], s[26:27], v[106:107]
	v_fma_f64 v[56:57], v[56:57], s[22:23], v[106:107]
	v_mul_f64 v[130:131], v[112:113], s[6:7]
	v_mul_f64 v[128:129], v[112:113], s[4:5]
	v_add_f64 v[116:117], v[40:41], v[116:117]
	v_add_f64 v[60:61], v[16:17], v[60:61]
	;; [unrolled: 1-line block ×7, first 2 shown]
	v_mul_f64 v[52:53], v[112:113], s[12:13]
	v_add_f64 v[54:55], v[82:83], v[54:55]
	v_add_f64 v[76:77], v[76:77], v[124:125]
	v_mul_f64 v[118:119], v[112:113], s[14:15]
	v_add_f64 v[100:101], v[100:101], v[120:121]
	v_add_f64 v[94:95], v[94:95], v[122:123]
	v_mul_f64 v[112:113], v[112:113], s[10:11]
	v_fma_f64 v[82:83], v[62:63], s[28:29], v[110:111]
	v_fma_f64 v[62:63], v[62:63], s[16:17], v[110:111]
	v_mul_f64 v[110:111], v[114:115], s[14:15]
	v_add_f64 v[68:69], v[68:69], v[130:131]
	v_add_f64 v[96:97], v[96:97], v[128:129]
	;; [unrolled: 1-line block ×9, first 2 shown]
	v_mul_f64 v[86:87], v[114:115], s[12:13]
	v_mul_f64 v[92:93], v[114:115], s[10:11]
	v_add_f64 v[52:53], v[78:79], v[52:53]
	v_mul_f64 v[106:107], v[114:115], s[4:5]
	v_mul_f64 v[108:109], v[114:115], s[6:7]
	v_add_f64 v[88:89], v[88:89], v[118:119]
	v_fma_f64 v[78:79], v[64:65], s[36:37], v[112:113]
	v_fma_f64 v[64:65], v[64:65], s[18:19], v[112:113]
	v_add_f64 v[116:117], v[36:37], v[116:117]
	v_add_f64 v[54:55], v[54:55], v[60:61]
	v_add_f64 v[58:59], v[76:77], v[58:59]
	v_add_f64 v[100:101], v[100:101], v[102:103]
	v_add_f64 v[70:71], v[94:95], v[70:71]
	v_add_f64 v[56:57], v[62:63], v[56:57]
	v_add_f64 v[16:17], v[82:83], v[16:17]
	v_add_f64 v[82:83], v[84:85], v[86:87]
	v_fma_f64 v[84:85], v[66:67], s[34:35], v[110:111]
	v_fma_f64 v[66:67], v[66:67], s[20:21], v[110:111]
	v_add_f64 v[76:77], v[98:99], v[106:107]
	v_add_f64 v[62:63], v[104:105], v[108:109]
	;; [unrolled: 1-line block ×9, first 2 shown]
	v_mad_u32_u24 v64, 0x58, v72, 0
	v_add_f64 v[80:81], v[24:25], v[116:117]
	v_add_f64 v[54:55], v[82:83], v[54:55]
	;; [unrolled: 1-line block ×11, first 2 shown]
	ds_write2_b64 v64, v[4:5], v[6:7] offset0:6 offset1:7
	ds_write2_b64 v64, v[0:1], v[2:3] offset0:8 offset1:9
	;; [unrolled: 1-line block ×4, first 2 shown]
	ds_write2_b64 v64, v[58:59], v[56:57] offset1:1
	ds_write_b64 v64, v[16:17] offset:80
.LBB0_13:
	s_or_b32 exec_lo, exec_lo, s1
	v_add_f64 v[112:113], v[32:33], -v[12:13]
	v_add_f64 v[110:111], v[44:45], -v[8:9]
	v_add_f64 v[100:101], v[14:15], v[34:35]
	v_add_f64 v[90:91], v[40:41], -v[20:21]
	v_add_f64 v[88:89], v[10:11], v[46:47]
	v_add_f64 v[32:33], v[22:23], v[42:43]
	v_add_f64 v[86:87], v[48:49], -v[24:25]
	v_add_f64 v[76:77], v[36:37], -v[28:29]
	v_lshl_add_u32 v73, v72, 3, 0
	s_waitcnt lgkmcnt(0)
	s_barrier
	buffer_gl0_inv
	v_mul_f64 v[102:103], v[112:113], s[22:23]
	v_mul_f64 v[104:105], v[112:113], s[16:17]
	;; [unrolled: 1-line block ×17, first 2 shown]
	v_fma_f64 v[8:9], v[100:101], s[4:5], v[102:103]
	v_fma_f64 v[12:13], v[100:101], s[6:7], v[104:105]
	;; [unrolled: 1-line block ×12, first 2 shown]
	v_add_f64 v[8:9], v[18:19], v[8:9]
	v_add_f64 v[58:59], v[18:19], v[12:13]
	;; [unrolled: 1-line block ×10, first 2 shown]
	v_mul_f64 v[24:25], v[76:77], s[18:19]
	v_mul_f64 v[20:21], v[76:77], s[26:27]
	;; [unrolled: 1-line block ×3, first 2 shown]
	v_fma_f64 v[58:59], v[12:13], s[6:7], v[36:37]
	v_fma_f64 v[70:71], v[12:13], s[12:13], v[40:41]
	;; [unrolled: 1-line block ×4, first 2 shown]
	v_add_f64 v[60:61], v[60:61], v[68:69]
	v_add_f64 v[52:53], v[62:63], v[52:53]
	;; [unrolled: 1-line block ×4, first 2 shown]
	v_fma_f64 v[62:63], v[8:9], s[12:13], v[28:29]
	v_fma_f64 v[64:65], v[8:9], s[10:11], v[24:25]
	;; [unrolled: 1-line block ×4, first 2 shown]
	v_add_f64 v[58:59], v[58:59], v[60:61]
	v_add_f64 v[52:53], v[70:71], v[52:53]
	;; [unrolled: 1-line block ×4, first 2 shown]
	v_add_nc_u32_e32 v115, 0x400, v73
	v_add_nc_u32_e32 v114, 0xc00, v73
	v_add_f64 v[54:55], v[62:63], v[58:59]
	v_add_f64 v[52:53], v[64:65], v[52:53]
	;; [unrolled: 1-line block ×4, first 2 shown]
	ds_read2_b64 v[60:63], v73 offset1:110
	ds_read2_b64 v[64:67], v115 offset0:92 offset1:202
	ds_read2_b64 v[68:71], v114 offset0:56 offset1:166
	s_waitcnt lgkmcnt(0)
	s_barrier
	buffer_gl0_inv
	s_and_saveexec_b32 s1, s0
	s_cbranch_execz .LBB0_15
; %bb.14:
	v_add_f64 v[34:35], v[34:35], v[18:19]
	s_mov_b32 s16, 0xf8bb580b
	s_mov_b32 s17, 0xbfe14ced
	v_mul_f64 v[116:117], v[100:101], s[10:11]
	v_mul_f64 v[118:119], v[100:101], s[14:15]
	v_mul_f64 v[112:113], v[112:113], s[16:17]
	s_mov_b32 s16, 0x8eee2c13
	s_mov_b32 s17, 0xbfed1bb4
	v_mul_f64 v[120:121], v[88:89], s[14:15]
	v_mul_f64 v[110:111], v[110:111], s[16:17]
	s_mov_b32 s16, 0x8764f0ba
	s_mov_b32 s17, 0x3feaeb8c
	v_mul_f64 v[122:123], v[88:89], s[6:7]
	v_mul_f64 v[124:125], v[88:89], s[12:13]
	s_mov_b32 s18, 0xd9c712b6
	s_mov_b32 s19, 0x3fda9628
	v_add_f64 v[34:35], v[46:47], v[34:35]
	v_mul_f64 v[46:47], v[100:101], s[6:7]
	v_add_f64 v[34:35], v[42:43], v[34:35]
	v_mul_f64 v[42:43], v[100:101], s[4:5]
	v_add_f64 v[46:47], v[46:47], -v[104:105]
	v_add_f64 v[104:105], v[118:119], -v[108:109]
	v_mul_f64 v[108:109], v[32:33], s[4:5]
	v_mul_f64 v[118:119], v[12:13], s[4:5]
	v_add_f64 v[34:35], v[50:51], v[34:35]
	v_mul_f64 v[50:51], v[88:89], s[10:11]
	v_add_f64 v[42:43], v[42:43], -v[102:103]
	v_add_f64 v[102:103], v[116:117], -v[106:107]
	v_fma_f64 v[106:107], v[100:101], s[16:17], -v[112:113]
	v_add_f64 v[46:47], v[18:19], v[46:47]
	v_mul_f64 v[116:117], v[32:33], s[10:11]
	v_add_f64 v[104:105], v[18:19], v[104:105]
	v_add_f64 v[80:81], v[108:109], -v[80:81]
	v_add_f64 v[34:35], v[38:39], v[34:35]
	v_fma_f64 v[38:39], v[100:101], s[16:17], v[112:113]
	s_mov_b32 s16, 0x43842ef
	s_mov_b32 s17, 0xbfefac9e
	v_mul_f64 v[100:101], v[32:33], s[14:15]
	v_add_f64 v[50:51], v[50:51], -v[92:93]
	v_add_f64 v[92:93], v[120:121], -v[94:95]
	v_add_f64 v[42:43], v[18:19], v[42:43]
	v_mul_f64 v[112:113], v[32:33], s[12:13]
	v_mul_f64 v[90:91], v[90:91], s[16:17]
	v_add_f64 v[94:95], v[122:123], -v[96:97]
	v_add_f64 v[96:97], v[124:125], -v[98:99]
	v_add_f64 v[102:103], v[18:19], v[102:103]
	v_fma_f64 v[98:99], v[88:89], s[18:19], -v[110:111]
	v_add_f64 v[106:107], v[18:19], v[106:107]
	v_fma_f64 v[88:89], v[88:89], s[18:19], v[110:111]
	s_mov_b32 s16, 0x640f44db
	v_mul_f64 v[110:111], v[12:13], s[14:15]
	s_mov_b32 s14, 0xbb3a28a1
	s_mov_b32 s17, 0xbfc2375f
	;; [unrolled: 1-line block ×3, first 2 shown]
	v_add_f64 v[84:85], v[116:117], -v[84:85]
	v_add_f64 v[30:31], v[30:31], v[34:35]
	v_add_f64 v[18:19], v[18:19], v[38:39]
	v_mul_f64 v[34:35], v[12:13], s[6:7]
	v_mul_f64 v[38:39], v[12:13], s[12:13]
	v_add_f64 v[78:79], v[100:101], -v[78:79]
	v_mul_f64 v[86:87], v[86:87], s[14:15]
	v_add_f64 v[46:47], v[92:93], v[46:47]
	v_add_f64 v[42:43], v[50:51], v[42:43]
	v_add_f64 v[82:83], v[112:113], -v[82:83]
	v_fma_f64 v[100:101], v[32:33], s[16:17], -v[90:91]
	v_fma_f64 v[32:33], v[32:33], s[16:17], v[90:91]
	v_add_f64 v[90:91], v[96:97], v[104:105]
	v_add_f64 v[50:51], v[94:95], v[102:103]
	v_mul_f64 v[94:95], v[8:9], s[4:5]
	v_add_f64 v[92:93], v[98:99], v[106:107]
	v_mul_f64 v[96:97], v[8:9], s[6:7]
	s_mov_b32 s4, 0xfd768dbf
	s_mov_b32 s6, 0x7f775887
	;; [unrolled: 1-line block ×4, first 2 shown]
	v_mul_f64 v[76:77], v[76:77], s[4:5]
	s_mov_b32 s4, 0x9bcd5057
	v_add_f64 v[26:27], v[26:27], v[30:31]
	v_add_f64 v[18:19], v[88:89], v[18:19]
	v_mul_f64 v[30:31], v[8:9], s[12:13]
	v_mul_f64 v[88:89], v[8:9], s[10:11]
	v_add_f64 v[34:35], v[34:35], -v[36:37]
	v_add_f64 v[36:37], v[38:39], -v[40:41]
	v_add_f64 v[46:47], v[80:81], v[46:47]
	v_add_f64 v[42:43], v[78:79], v[42:43]
	v_add_f64 v[38:39], v[110:111], -v[44:45]
	v_add_f64 v[40:41], v[118:119], -v[48:49]
	v_fma_f64 v[44:45], v[12:13], s[6:7], -v[86:87]
	v_fma_f64 v[12:13], v[12:13], s[6:7], v[86:87]
	v_add_f64 v[48:49], v[82:83], v[50:51]
	v_add_f64 v[50:51], v[84:85], v[90:91]
	;; [unrolled: 1-line block ×3, first 2 shown]
	s_mov_b32 s5, 0xbfeeb42a
	v_add_f64 v[20:21], v[94:95], -v[20:21]
	v_add_f64 v[16:17], v[96:97], -v[16:17]
	v_add_f64 v[22:23], v[22:23], v[26:27]
	v_add_f64 v[18:19], v[32:33], v[18:19]
	v_add_f64 v[26:27], v[30:31], -v[28:29]
	v_add_f64 v[24:25], v[88:89], -v[24:25]
	v_fma_f64 v[28:29], v[8:9], s[4:5], -v[76:77]
	v_fma_f64 v[8:9], v[8:9], s[4:5], v[76:77]
	v_add_f64 v[32:33], v[36:37], v[46:47]
	v_add_f64 v[30:31], v[34:35], v[42:43]
	;; [unrolled: 1-line block ×14, first 2 shown]
	v_mad_u32_u24 v12, 0x50, v72, v73
	ds_write2_b64 v12, v[56:57], v[58:59] offset0:6 offset1:7
	ds_write2_b64 v12, v[52:53], v[54:55] offset0:8 offset1:9
	;; [unrolled: 1-line block ×4, first 2 shown]
	ds_write2_b64 v12, v[10:11], v[24:25] offset1:1
	ds_write_b64 v12, v[8:9] offset:80
.LBB0_15:
	s_or_b32 exec_lo, exec_lo, s1
	v_and_b32_e32 v8, 0xff, v72
	s_waitcnt lgkmcnt(0)
	s_barrier
	buffer_gl0_inv
	s_mov_b32 s4, 0xe8584caa
	v_mul_lo_u16 v8, 0x75, v8
	s_mov_b32 s5, 0xbfebb67a
	s_mov_b32 s7, 0x3febb67a
	;; [unrolled: 1-line block ×3, first 2 shown]
	v_cmp_gt_u32_e64 s0, 0x42, v72
	v_lshrrev_b16 v8, 8, v8
	v_sub_nc_u16 v9, v72, v8
	v_lshrrev_b16 v9, 1, v9
	v_and_b32_e32 v9, 0x7f, v9
	v_add_nc_u16 v8, v9, v8
	v_mov_b32_e32 v9, 5
	v_lshrrev_b16 v48, 3, v8
	v_mul_lo_u16 v8, v48, 11
	v_sub_nc_u16 v49, v72, v8
	v_mul_u32_u24_sdwa v8, v49, v9 dst_sel:DWORD dst_unused:UNUSED_PAD src0_sel:BYTE_0 src1_sel:DWORD
	v_lshlrev_b32_e32 v12, 4, v8
	s_clause 0x4
	global_load_dwordx4 v[8:11], v12, s[8:9] offset:32
	global_load_dwordx4 v[16:19], v12, s[8:9] offset:64
	global_load_dwordx4 v[20:23], v12, s[8:9]
	global_load_dwordx4 v[30:33], v12, s[8:9] offset:16
	global_load_dwordx4 v[34:37], v12, s[8:9] offset:48
	ds_read2_b64 v[38:41], v115 offset0:92 offset1:202
	ds_read2_b64 v[44:47], v114 offset0:56 offset1:166
	ds_read2_b64 v[12:15], v73 offset1:110
	s_waitcnt vmcnt(0) lgkmcnt(0)
	s_barrier
	buffer_gl0_inv
	v_mul_f64 v[24:25], v[66:67], v[10:11]
	v_mul_f64 v[28:29], v[70:71], v[18:19]
	;; [unrolled: 1-line block ×6, first 2 shown]
	v_fma_f64 v[26:27], v[40:41], v[8:9], -v[24:25]
	v_fma_f64 v[24:25], v[46:47], v[16:17], -v[28:29]
	v_mul_f64 v[28:29], v[38:39], v[32:33]
	v_mul_f64 v[40:41], v[44:45], v[36:37]
	v_fma_f64 v[8:9], v[66:67], v[8:9], v[10:11]
	v_fma_f64 v[10:11], v[70:71], v[16:17], v[18:19]
	v_fma_f64 v[14:15], v[14:15], v[20:21], -v[42:43]
	v_mul_f64 v[18:19], v[64:65], v[32:33]
	v_mul_f64 v[36:37], v[68:69], v[36:37]
	v_fma_f64 v[20:21], v[62:63], v[20:21], v[22:23]
	v_add_f64 v[16:17], v[26:27], v[24:25]
	v_fma_f64 v[28:29], v[64:65], v[30:31], v[28:29]
	v_fma_f64 v[32:33], v[68:69], v[34:35], v[40:41]
	v_add_f64 v[22:23], v[8:9], v[10:11]
	v_add_f64 v[46:47], v[8:9], -v[10:11]
	v_fma_f64 v[42:43], v[38:39], v[30:31], -v[18:19]
	v_fma_f64 v[30:31], v[44:45], v[34:35], -v[36:37]
	v_add_f64 v[38:39], v[26:27], -v[24:25]
	v_add_f64 v[8:9], v[20:21], v[8:9]
	v_fma_f64 v[16:17], v[16:17], -0.5, v[14:15]
	v_add_f64 v[18:19], v[28:29], v[32:33]
	v_fma_f64 v[22:23], v[22:23], -0.5, v[20:21]
	v_add_f64 v[44:45], v[42:43], -v[30:31]
	v_add_f64 v[10:11], v[8:9], v[10:11]
	v_fma_f64 v[40:41], v[46:47], s[6:7], v[16:17]
	v_fma_f64 v[34:35], v[46:47], s[4:5], v[16:17]
	v_add_f64 v[16:17], v[60:61], v[28:29]
	v_fma_f64 v[18:19], v[18:19], -0.5, v[60:61]
	v_fma_f64 v[36:37], v[38:39], s[4:5], v[22:23]
	v_fma_f64 v[38:39], v[38:39], s[6:7], v[22:23]
	v_mul_f64 v[20:21], v[40:41], s[4:5]
	v_mul_f64 v[22:23], v[34:35], s[4:5]
	v_add_f64 v[16:17], v[16:17], v[32:33]
	v_fma_f64 v[46:47], v[44:45], s[4:5], v[18:19]
	v_fma_f64 v[44:45], v[44:45], s[6:7], v[18:19]
	v_fma_f64 v[20:21], v[36:37], 0.5, v[20:21]
	v_fma_f64 v[22:23], v[38:39], -0.5, v[22:23]
	v_add_f64 v[8:9], v[16:17], v[10:11]
	v_add_f64 v[18:19], v[16:17], -v[10:11]
	v_add_f64 v[10:11], v[46:47], v[20:21]
	v_add_f64 v[16:17], v[44:45], v[22:23]
	v_add_f64 v[20:21], v[46:47], -v[20:21]
	v_add_f64 v[22:23], v[44:45], -v[22:23]
	v_mov_b32_e32 v44, 0x210
	v_mov_b32_e32 v45, 3
	v_mul_u32_u24_sdwa v44, v48, v44 dst_sel:DWORD dst_unused:UNUSED_PAD src0_sel:WORD_0 src1_sel:DWORD
	v_lshlrev_b32_sdwa v45, v45, v49 dst_sel:DWORD dst_unused:UNUSED_PAD src0_sel:DWORD src1_sel:BYTE_0
	v_add3_u32 v44, 0, v44, v45
	ds_write2_b64 v44, v[8:9], v[10:11] offset1:11
	ds_write2_b64 v44, v[16:17], v[18:19] offset0:22 offset1:33
	ds_write2_b64 v44, v[20:21], v[22:23] offset0:44 offset1:55
	s_waitcnt lgkmcnt(0)
	s_barrier
	buffer_gl0_inv
	s_and_saveexec_b32 s1, s0
	s_cbranch_execz .LBB0_17
; %bb.16:
	v_add_nc_u32_e32 v0, 0x800, v73
	v_add_nc_u32_e32 v1, 0x1000, v73
	ds_read2_b64 v[8:11], v73 offset1:66
	ds_read2_b64 v[16:19], v73 offset0:132 offset1:198
	ds_read2_b64 v[20:23], v0 offset0:8 offset1:74
	;; [unrolled: 1-line block ×4, first 2 shown]
.LBB0_17:
	s_or_b32 exec_lo, exec_lo, s1
	v_add_f64 v[45:46], v[42:43], v[30:31]
	v_add_f64 v[42:43], v[12:13], v[42:43]
	v_add_f64 v[28:29], v[28:29], -v[32:33]
	v_add_f64 v[14:15], v[14:15], v[26:27]
	v_mul_f64 v[26:27], v[40:41], 0.5
	v_mul_f64 v[32:33], v[34:35], -0.5
	s_waitcnt lgkmcnt(0)
	s_barrier
	buffer_gl0_inv
	v_fma_f64 v[12:13], v[45:46], -0.5, v[12:13]
	v_add_f64 v[30:31], v[42:43], v[30:31]
	v_add_f64 v[14:15], v[14:15], v[24:25]
	v_fma_f64 v[34:35], v[36:37], s[6:7], v[26:27]
	v_fma_f64 v[32:33], v[38:39], s[6:7], v[32:33]
	;; [unrolled: 1-line block ×4, first 2 shown]
	v_add_f64 v[12:13], v[30:31], v[14:15]
	v_add_f64 v[26:27], v[30:31], -v[14:15]
	v_add_f64 v[14:15], v[36:37], v[34:35]
	v_add_f64 v[24:25], v[38:39], v[32:33]
	v_add_f64 v[28:29], v[36:37], -v[34:35]
	v_add_f64 v[30:31], v[38:39], -v[32:33]
	ds_write2_b64 v44, v[12:13], v[14:15] offset1:11
	ds_write2_b64 v44, v[24:25], v[26:27] offset0:22 offset1:33
	ds_write2_b64 v44, v[28:29], v[30:31] offset0:44 offset1:55
	s_waitcnt lgkmcnt(0)
	s_barrier
	buffer_gl0_inv
	s_and_saveexec_b32 s1, s0
	s_cbranch_execnz .LBB0_20
; %bb.18:
	s_or_b32 exec_lo, exec_lo, s1
	s_and_b32 s0, vcc_lo, s0
	s_and_saveexec_b32 s1, s0
	s_cbranch_execnz .LBB0_21
.LBB0_19:
	s_endpgm
.LBB0_20:
	v_add_nc_u32_e32 v32, 0x800, v73
	v_add_nc_u32_e32 v33, 0x1000, v73
	ds_read2_b64 v[12:15], v73 offset1:66
	ds_read2_b64 v[24:27], v73 offset0:132 offset1:198
	ds_read2_b64 v[28:31], v32 offset0:8 offset1:74
	;; [unrolled: 1-line block ×4, first 2 shown]
	s_or_b32 exec_lo, exec_lo, s1
	s_and_b32 s0, vcc_lo, s0
	s_and_saveexec_b32 s1, s0
	s_cbranch_execz .LBB0_19
.LBB0_21:
	v_mul_u32_u24_e32 v32, 9, v72
	s_mov_b32 s0, 0x134454ff
	s_mov_b32 s1, 0xbfee6f0e
	;; [unrolled: 1-line block ×4, first 2 shown]
	v_lshlrev_b32_e32 v73, 4, v32
	s_mov_b32 s10, 0x4755a5e
	s_mov_b32 s11, 0xbfe2cf23
	;; [unrolled: 1-line block ×4, first 2 shown]
	s_clause 0x8
	global_load_dwordx4 v[32:35], v73, s[8:9] offset:944
	global_load_dwordx4 v[36:39], v73, s[8:9] offset:976
	;; [unrolled: 1-line block ×9, first 2 shown]
	s_mov_b32 s9, 0x3fe2cf23
	s_mov_b32 s8, s10
	;; [unrolled: 1-line block ×8, first 2 shown]
	v_mov_b32_e32 v73, 0
	s_waitcnt vmcnt(8)
	v_mul_f64 v[80:81], v[22:23], v[34:35]
	s_waitcnt vmcnt(7)
	v_mul_f64 v[82:83], v[6:7], v[38:39]
	;; [unrolled: 2-line block ×4, first 2 shown]
	s_waitcnt lgkmcnt(3)
	v_mul_f64 v[42:43], v[26:27], v[42:43]
	s_waitcnt lgkmcnt(2)
	v_mul_f64 v[34:35], v[30:31], v[34:35]
	;; [unrolled: 2-line block ×3, first 2 shown]
	v_mul_f64 v[38:39], v[58:59], v[38:39]
	s_waitcnt vmcnt(0)
	v_mul_f64 v[96:97], v[10:11], v[78:79]
	v_mul_f64 v[88:89], v[16:17], v[50:51]
	;; [unrolled: 1-line block ×10, first 2 shown]
	v_fma_f64 v[30:31], v[30:31], v[32:33], -v[80:81]
	v_fma_f64 v[58:59], v[58:59], v[36:37], -v[82:83]
	;; [unrolled: 1-line block ×4, first 2 shown]
	v_fma_f64 v[18:19], v[18:19], v[40:41], v[42:43]
	v_fma_f64 v[22:23], v[22:23], v[32:33], v[34:35]
	;; [unrolled: 1-line block ×4, first 2 shown]
	v_fma_f64 v[14:15], v[14:15], v[76:77], -v[96:97]
	v_fma_f64 v[24:25], v[24:25], v[48:49], -v[88:89]
	;; [unrolled: 1-line block ×5, first 2 shown]
	v_fma_f64 v[16:17], v[16:17], v[48:49], v[50:51]
	v_fma_f64 v[0:1], v[0:1], v[64:65], v[66:67]
	;; [unrolled: 1-line block ×5, first 2 shown]
	v_add_f64 v[32:33], v[30:31], v[58:59]
	v_add_f64 v[66:67], v[30:31], -v[58:59]
	v_add_f64 v[34:35], v[26:27], v[54:55]
	v_add_f64 v[68:69], v[26:27], -v[54:55]
	v_add_f64 v[46:47], v[18:19], -v[22:23]
	v_add_f64 v[50:51], v[18:19], v[2:3]
	v_add_f64 v[48:49], v[22:23], v[6:7]
	v_add_f64 v[60:61], v[18:19], -v[2:3]
	v_add_f64 v[62:63], v[22:23], -v[6:7]
	;; [unrolled: 1-line block ×5, first 2 shown]
	v_add_f64 v[40:41], v[28:29], v[56:57]
	v_add_f64 v[70:71], v[26:27], -v[30:31]
	v_add_f64 v[76:77], v[54:55], -v[58:59]
	v_add_f64 v[82:83], v[24:25], v[52:53]
	v_add_f64 v[88:89], v[30:31], -v[26:27]
	v_add_f64 v[90:91], v[58:59], -v[54:55]
	v_add_f64 v[92:93], v[20:21], v[4:5]
	v_add_f64 v[94:95], v[16:17], v[0:1]
	v_add_f64 v[42:43], v[16:17], -v[0:1]
	v_add_f64 v[96:97], v[12:13], v[24:25]
	v_fma_f64 v[32:33], v[32:33], -0.5, v[14:15]
	v_add_f64 v[106:107], v[20:21], -v[16:17]
	v_fma_f64 v[34:35], v[34:35], -0.5, v[14:15]
	v_add_f64 v[14:15], v[26:27], v[14:15]
	v_add_f64 v[44:45], v[20:21], -v[4:5]
	v_add_f64 v[78:79], v[28:29], -v[24:25]
	v_fma_f64 v[26:27], v[48:49], -0.5, v[10:11]
	v_fma_f64 v[48:49], v[50:51], -0.5, v[10:11]
	v_add_f64 v[50:51], v[16:17], -v[20:21]
	v_add_f64 v[16:17], v[8:9], v[16:17]
	v_add_f64 v[10:11], v[18:19], v[10:11]
	v_add_f64 v[80:81], v[56:57], -v[52:53]
	v_add_f64 v[84:85], v[22:23], -v[18:19]
	;; [unrolled: 1-line block ×5, first 2 shown]
	v_fma_f64 v[18:19], v[40:41], -0.5, v[12:13]
	v_fma_f64 v[12:13], v[82:83], -0.5, v[12:13]
	v_add_f64 v[36:37], v[36:37], v[38:39]
	v_add_f64 v[38:39], v[46:47], v[64:65]
	v_fma_f64 v[40:41], v[92:93], -0.5, v[8:9]
	v_fma_f64 v[8:9], v[94:95], -0.5, v[8:9]
	v_fma_f64 v[100:101], v[60:61], s[0:1], v[32:33]
	v_fma_f64 v[32:33], v[60:61], s[6:7], v[32:33]
	;; [unrolled: 1-line block ×4, first 2 shown]
	v_add_f64 v[46:47], v[70:71], v[76:77]
	v_add_f64 v[64:65], v[88:89], v[90:91]
	v_fma_f64 v[70:71], v[68:69], s[6:7], v[26:27]
	v_fma_f64 v[76:77], v[66:67], s[0:1], v[48:49]
	;; [unrolled: 1-line block ×4, first 2 shown]
	v_add_f64 v[28:29], v[96:97], v[28:29]
	v_add_f64 v[14:15], v[30:31], v[14:15]
	;; [unrolled: 1-line block ×4, first 2 shown]
	v_add_f64 v[98:99], v[0:1], -v[4:5]
	v_add_f64 v[108:109], v[4:5], -v[0:1]
	v_fma_f64 v[20:21], v[42:43], s[0:1], v[18:19]
	v_fma_f64 v[22:23], v[44:45], s[6:7], v[12:13]
	;; [unrolled: 1-line block ×10, first 2 shown]
	v_add_f64 v[60:61], v[78:79], v[80:81]
	v_add_f64 v[62:63], v[84:85], v[86:87]
	v_fma_f64 v[78:79], v[104:105], s[0:1], v[8:9]
	v_fma_f64 v[8:9], v[104:105], s[6:7], v[8:9]
	;; [unrolled: 1-line block ×6, first 2 shown]
	v_add_f64 v[28:29], v[28:29], v[56:57]
	v_add_f64 v[14:15], v[58:59], v[14:15]
	;; [unrolled: 1-line block ×4, first 2 shown]
	v_fma_f64 v[10:11], v[44:45], s[10:11], v[20:21]
	v_fma_f64 v[16:17], v[42:43], s[10:11], v[22:23]
	;; [unrolled: 1-line block ×9, first 2 shown]
	v_add_f64 v[46:47], v[50:51], v[98:99]
	v_add_f64 v[50:51], v[106:107], v[108:109]
	v_fma_f64 v[22:23], v[24:25], s[8:9], v[78:79]
	v_fma_f64 v[8:9], v[24:25], s[10:11], v[8:9]
	v_fma_f64 v[24:25], v[104:105], s[10:11], v[40:41]
	v_fma_f64 v[30:31], v[38:39], s[4:5], v[70:71]
	v_fma_f64 v[40:41], v[62:63], s[4:5], v[76:77]
	v_fma_f64 v[42:43], v[62:63], s[4:5], v[48:49]
	v_fma_f64 v[26:27], v[38:39], s[4:5], v[26:27]
	v_add_f64 v[28:29], v[52:53], v[28:29]
	v_add_f64 v[14:15], v[54:55], v[14:15]
	;; [unrolled: 1-line block ×4, first 2 shown]
	v_fma_f64 v[54:55], v[36:37], s[4:5], v[10:11]
	v_fma_f64 v[16:17], v[60:61], s[4:5], v[16:17]
	;; [unrolled: 1-line block ×4, first 2 shown]
	v_lshlrev_b64 v[64:65], 4, v[72:73]
	v_mul_f64 v[38:39], v[66:67], s[12:13]
	v_mul_f64 v[56:57], v[32:33], s[16:17]
	;; [unrolled: 1-line block ×8, first 2 shown]
	v_fma_f64 v[60:61], v[46:47], s[4:5], v[20:21]
	v_fma_f64 v[46:47], v[46:47], s[4:5], v[24:25]
	;; [unrolled: 1-line block ×4, first 2 shown]
	v_add_co_u32 v68, vcc_lo, s2, v74
	v_add_f64 v[6:7], v[28:29], v[14:15]
	v_add_f64 v[2:3], v[28:29], -v[14:15]
	v_add_f64 v[0:1], v[4:5], -v[52:53]
	v_add_f64 v[4:5], v[4:5], v[52:53]
	v_add_co_ci_u32_e32 v69, vcc_lo, s3, v75, vcc_lo
	v_fma_f64 v[20:21], v[30:31], s[8:9], v[38:39]
	v_fma_f64 v[38:39], v[40:41], s[6:7], v[44:45]
	;; [unrolled: 1-line block ×8, first 2 shown]
	v_add_co_u32 v58, vcc_lo, v68, v64
	v_add_co_ci_u32_e32 v59, vcc_lo, v69, v65, vcc_lo
	v_add_co_u32 v62, vcc_lo, 0x800, v58
	v_add_co_ci_u32_e32 v63, vcc_lo, 0, v59, vcc_lo
	v_add_f64 v[26:27], v[54:55], v[20:21]
	v_add_f64 v[10:11], v[54:55], -v[20:21]
	v_add_f64 v[14:15], v[16:17], -v[38:39]
	v_add_f64 v[30:31], v[16:17], v[38:39]
	v_add_f64 v[22:23], v[36:37], -v[48:49]
	v_add_f64 v[38:39], v[36:37], v[48:49]
	v_add_f64 v[36:37], v[46:47], v[56:57]
	;; [unrolled: 1-line block ×6, first 2 shown]
	v_add_f64 v[20:21], v[46:47], -v[56:57]
	v_add_f64 v[18:19], v[12:13], -v[44:45]
	;; [unrolled: 1-line block ×5, first 2 shown]
	v_add_co_u32 v40, vcc_lo, 0x1000, v58
	v_add_co_ci_u32_e32 v41, vcc_lo, 0, v59, vcc_lo
	v_add_co_u32 v42, vcc_lo, 0x1800, v58
	v_add_co_ci_u32_e32 v43, vcc_lo, 0, v59, vcc_lo
	;; [unrolled: 2-line block ×3, first 2 shown]
	global_store_dwordx4 v[58:59], v[4:7], off
	global_store_dwordx4 v[40:41], v[0:3], off offset:1184
	global_store_dwordx4 v[58:59], v[36:39], off offset:1056
	;; [unrolled: 1-line block ×9, first 2 shown]
	s_endpgm
	.section	.rodata,"a",@progbits
	.p2align	6, 0x0
	.amdhsa_kernel fft_rtc_back_len660_factors_11_6_10_wgs_110_tpt_110_halfLds_dp_ip_CI_unitstride_sbrr_dirReg
		.amdhsa_group_segment_fixed_size 0
		.amdhsa_private_segment_fixed_size 0
		.amdhsa_kernarg_size 88
		.amdhsa_user_sgpr_count 6
		.amdhsa_user_sgpr_private_segment_buffer 1
		.amdhsa_user_sgpr_dispatch_ptr 0
		.amdhsa_user_sgpr_queue_ptr 0
		.amdhsa_user_sgpr_kernarg_segment_ptr 1
		.amdhsa_user_sgpr_dispatch_id 0
		.amdhsa_user_sgpr_flat_scratch_init 0
		.amdhsa_user_sgpr_private_segment_size 0
		.amdhsa_wavefront_size32 1
		.amdhsa_uses_dynamic_stack 0
		.amdhsa_system_sgpr_private_segment_wavefront_offset 0
		.amdhsa_system_sgpr_workgroup_id_x 1
		.amdhsa_system_sgpr_workgroup_id_y 0
		.amdhsa_system_sgpr_workgroup_id_z 0
		.amdhsa_system_sgpr_workgroup_info 0
		.amdhsa_system_vgpr_workitem_id 0
		.amdhsa_next_free_vgpr 134
		.amdhsa_next_free_sgpr 38
		.amdhsa_reserve_vcc 1
		.amdhsa_reserve_flat_scratch 0
		.amdhsa_float_round_mode_32 0
		.amdhsa_float_round_mode_16_64 0
		.amdhsa_float_denorm_mode_32 3
		.amdhsa_float_denorm_mode_16_64 3
		.amdhsa_dx10_clamp 1
		.amdhsa_ieee_mode 1
		.amdhsa_fp16_overflow 0
		.amdhsa_workgroup_processor_mode 1
		.amdhsa_memory_ordered 1
		.amdhsa_forward_progress 0
		.amdhsa_shared_vgpr_count 0
		.amdhsa_exception_fp_ieee_invalid_op 0
		.amdhsa_exception_fp_denorm_src 0
		.amdhsa_exception_fp_ieee_div_zero 0
		.amdhsa_exception_fp_ieee_overflow 0
		.amdhsa_exception_fp_ieee_underflow 0
		.amdhsa_exception_fp_ieee_inexact 0
		.amdhsa_exception_int_div_zero 0
	.end_amdhsa_kernel
	.text
.Lfunc_end0:
	.size	fft_rtc_back_len660_factors_11_6_10_wgs_110_tpt_110_halfLds_dp_ip_CI_unitstride_sbrr_dirReg, .Lfunc_end0-fft_rtc_back_len660_factors_11_6_10_wgs_110_tpt_110_halfLds_dp_ip_CI_unitstride_sbrr_dirReg
                                        ; -- End function
	.section	.AMDGPU.csdata,"",@progbits
; Kernel info:
; codeLenInByte = 7604
; NumSgprs: 40
; NumVgprs: 134
; ScratchSize: 0
; MemoryBound: 1
; FloatMode: 240
; IeeeMode: 1
; LDSByteSize: 0 bytes/workgroup (compile time only)
; SGPRBlocks: 4
; VGPRBlocks: 16
; NumSGPRsForWavesPerEU: 40
; NumVGPRsForWavesPerEU: 134
; Occupancy: 7
; WaveLimiterHint : 1
; COMPUTE_PGM_RSRC2:SCRATCH_EN: 0
; COMPUTE_PGM_RSRC2:USER_SGPR: 6
; COMPUTE_PGM_RSRC2:TRAP_HANDLER: 0
; COMPUTE_PGM_RSRC2:TGID_X_EN: 1
; COMPUTE_PGM_RSRC2:TGID_Y_EN: 0
; COMPUTE_PGM_RSRC2:TGID_Z_EN: 0
; COMPUTE_PGM_RSRC2:TIDIG_COMP_CNT: 0
	.text
	.p2alignl 6, 3214868480
	.fill 48, 4, 3214868480
	.type	__hip_cuid_b9db6b7ef76255da,@object ; @__hip_cuid_b9db6b7ef76255da
	.section	.bss,"aw",@nobits
	.globl	__hip_cuid_b9db6b7ef76255da
__hip_cuid_b9db6b7ef76255da:
	.byte	0                               ; 0x0
	.size	__hip_cuid_b9db6b7ef76255da, 1

	.ident	"AMD clang version 19.0.0git (https://github.com/RadeonOpenCompute/llvm-project roc-6.4.0 25133 c7fe45cf4b819c5991fe208aaa96edf142730f1d)"
	.section	".note.GNU-stack","",@progbits
	.addrsig
	.addrsig_sym __hip_cuid_b9db6b7ef76255da
	.amdgpu_metadata
---
amdhsa.kernels:
  - .args:
      - .actual_access:  read_only
        .address_space:  global
        .offset:         0
        .size:           8
        .value_kind:     global_buffer
      - .offset:         8
        .size:           8
        .value_kind:     by_value
      - .actual_access:  read_only
        .address_space:  global
        .offset:         16
        .size:           8
        .value_kind:     global_buffer
      - .actual_access:  read_only
        .address_space:  global
        .offset:         24
        .size:           8
        .value_kind:     global_buffer
      - .offset:         32
        .size:           8
        .value_kind:     by_value
      - .actual_access:  read_only
        .address_space:  global
        .offset:         40
        .size:           8
        .value_kind:     global_buffer
      - .actual_access:  read_only
        .address_space:  global
        .offset:         48
        .size:           8
        .value_kind:     global_buffer
      - .offset:         56
        .size:           4
        .value_kind:     by_value
      - .actual_access:  read_only
        .address_space:  global
        .offset:         64
        .size:           8
        .value_kind:     global_buffer
      - .actual_access:  read_only
        .address_space:  global
        .offset:         72
        .size:           8
        .value_kind:     global_buffer
      - .address_space:  global
        .offset:         80
        .size:           8
        .value_kind:     global_buffer
    .group_segment_fixed_size: 0
    .kernarg_segment_align: 8
    .kernarg_segment_size: 88
    .language:       OpenCL C
    .language_version:
      - 2
      - 0
    .max_flat_workgroup_size: 110
    .name:           fft_rtc_back_len660_factors_11_6_10_wgs_110_tpt_110_halfLds_dp_ip_CI_unitstride_sbrr_dirReg
    .private_segment_fixed_size: 0
    .sgpr_count:     40
    .sgpr_spill_count: 0
    .symbol:         fft_rtc_back_len660_factors_11_6_10_wgs_110_tpt_110_halfLds_dp_ip_CI_unitstride_sbrr_dirReg.kd
    .uniform_work_group_size: 1
    .uses_dynamic_stack: false
    .vgpr_count:     134
    .vgpr_spill_count: 0
    .wavefront_size: 32
    .workgroup_processor_mode: 1
amdhsa.target:   amdgcn-amd-amdhsa--gfx1030
amdhsa.version:
  - 1
  - 2
...

	.end_amdgpu_metadata
